;; amdgpu-corpus repo=ROCm/rocFFT kind=compiled arch=gfx950 opt=O3
	.text
	.amdgcn_target "amdgcn-amd-amdhsa--gfx950"
	.amdhsa_code_object_version 6
	.protected	bluestein_single_back_len300_dim1_dp_op_CI_CI ; -- Begin function bluestein_single_back_len300_dim1_dp_op_CI_CI
	.globl	bluestein_single_back_len300_dim1_dp_op_CI_CI
	.p2align	8
	.type	bluestein_single_back_len300_dim1_dp_op_CI_CI,@function
bluestein_single_back_len300_dim1_dp_op_CI_CI: ; @bluestein_single_back_len300_dim1_dp_op_CI_CI
; %bb.0:
	s_load_dwordx4 s[16:19], s[0:1], 0x28
	v_mul_u32_u24_e32 v1, 0x889, v0
	v_lshrrev_b32_e32 v54, 16, v1
	v_mov_b32_e32 v157, 0
	v_lshl_add_u32 v158, s2, 1, v54
	v_mov_b32_e32 v159, v157
	s_waitcnt lgkmcnt(0)
	v_cmp_gt_u64_e32 vcc, s[16:17], v[158:159]
	s_and_saveexec_b64 s[2:3], vcc
	s_cbranch_execz .LBB0_10
; %bb.1:
	s_load_dwordx4 s[4:7], s[0:1], 0x18
	s_load_dwordx4 s[8:11], s[0:1], 0x0
	v_mul_lo_u16_e32 v1, 30, v54
	v_sub_u16_e32 v156, v0, v1
	v_mov_b32_e32 v2, s18
	s_waitcnt lgkmcnt(0)
	s_load_dwordx4 s[12:15], s[4:5], 0x0
	v_mov_b32_e32 v3, s19
	v_lshlrev_b32_e32 v52, 4, v156
	v_mov_b32_e32 v53, v157
	v_lshl_add_u64 v[32:33], s[8:9], 0, v[52:53]
	s_waitcnt lgkmcnt(0)
	v_mad_u64_u32 v[0:1], s[2:3], s14, v158, 0
	v_mov_b32_e32 v4, v1
	v_mad_u64_u32 v[4:5], s[2:3], s15, v158, v[4:5]
	v_mov_b32_e32 v1, v4
	;; [unrolled: 2-line block ×4, first 2 shown]
	v_lshl_add_u64 v[0:1], v[0:1], 4, v[2:3]
	v_lshl_add_u64 v[0:1], v[4:5], 4, v[0:1]
	v_mov_b32_e32 v53, 0x1e0
	v_mad_u64_u32 v[8:9], s[2:3], s12, v53, v[0:1]
	s_mul_i32 s2, s13, 0x1e0
	s_nop 0
	v_add_u32_e32 v9, s2, v9
	v_mad_u64_u32 v[10:11], s[4:5], s12, v53, v[8:9]
	global_load_dwordx4 v[40:43], v[0:1], off
	v_add_u32_e32 v11, s2, v11
	global_load_dwordx4 v[4:7], v52, s[8:9]
	global_load_dwordx4 v[0:3], v52, s[8:9] offset:480
	v_mad_u64_u32 v[16:17], s[4:5], s12, v53, v[10:11]
	global_load_dwordx4 v[48:51], v[8:9], off
	global_load_dwordx4 v[44:47], v[10:11], off
	v_add_u32_e32 v17, s2, v17
	v_mad_u64_u32 v[18:19], s[4:5], s12, v53, v[16:17]
	global_load_dwordx4 v[12:15], v52, s[8:9] offset:960
	global_load_dwordx4 v[8:11], v52, s[8:9] offset:1440
	v_add_u32_e32 v19, s2, v19
	v_mad_u64_u32 v[20:21], s[4:5], s12, v53, v[18:19]
	global_load_dwordx4 v[56:59], v[16:17], off
	global_load_dwordx4 v[60:63], v[18:19], off
	v_add_u32_e32 v21, s2, v21
	global_load_dwordx4 v[64:67], v[20:21], off
	global_load_dwordx4 v[28:31], v52, s[8:9] offset:1920
	global_load_dwordx4 v[16:19], v52, s[8:9] offset:2400
	v_mad_u64_u32 v[20:21], s[4:5], s12, v53, v[20:21]
	v_add_u32_e32 v21, s2, v21
	global_load_dwordx4 v[68:71], v[20:21], off
	v_mad_u64_u32 v[20:21], s[4:5], s12, v53, v[20:21]
	v_add_u32_e32 v21, s2, v21
	v_mad_u64_u32 v[34:35], s[4:5], s12, v53, v[20:21]
	global_load_dwordx4 v[72:75], v[20:21], off
	global_load_dwordx4 v[36:39], v52, s[8:9] offset:2880
	global_load_dwordx4 v[24:27], v52, s[8:9] offset:3360
	v_add_u32_e32 v35, s2, v35
	v_mad_u64_u32 v[84:85], s[4:5], s12, v53, v[34:35]
	v_add_u32_e32 v85, s2, v85
	s_movk_i32 s2, 0x1000
	global_load_dwordx4 v[76:79], v[34:35], off
	global_load_dwordx4 v[20:23], v52, s[8:9] offset:3840
	v_add_co_u32_e32 v86, vcc, s2, v32
	v_and_b32_e32 v53, 1, v54
	s_nop 0
	v_addc_co_u32_e32 v87, vcc, 0, v33, vcc
	global_load_dwordx4 v[32:35], v[86:87], off offset:224
	global_load_dwordx4 v[80:83], v[84:85], off
	v_mov_b32_e32 v54, 0x12c
	v_cmp_eq_u32_e32 vcc, 1, v53
	s_load_dwordx4 s[4:7], s[6:7], 0x0
	s_mov_b32 s18, 0x134454ff
	v_cndmask_b32_e32 v53, 0, v54, vcc
	v_lshlrev_b32_e32 v161, 4, v53
	v_add_u32_e32 v159, v161, v52
	s_mov_b32 s19, 0x3fee6f0e
	s_mov_b32 s20, 0x4755a5e
	;; [unrolled: 1-line block ×11, first 2 shown]
	s_movk_i32 s2, 0xcd
	v_cmp_gt_u16_e32 vcc, 10, v156
	s_waitcnt vmcnt(18)
	v_mul_f64 v[52:53], v[42:43], v[6:7]
	v_mul_f64 v[54:55], v[40:41], v[6:7]
	v_fmac_f64_e32 v[52:53], v[40:41], v[4:5]
	v_fma_f64 v[54:55], v[42:43], v[4:5], -v[54:55]
	s_waitcnt vmcnt(16)
	v_mul_f64 v[40:41], v[50:51], v[2:3]
	v_mul_f64 v[42:43], v[48:49], v[2:3]
	v_fmac_f64_e32 v[40:41], v[48:49], v[0:1]
	v_fma_f64 v[42:43], v[50:51], v[0:1], -v[42:43]
	ds_write_b128 v159, v[40:43] offset:480
	s_waitcnt vmcnt(14)
	v_mul_f64 v[40:41], v[46:47], v[14:15]
	v_mul_f64 v[42:43], v[44:45], v[14:15]
	v_fmac_f64_e32 v[40:41], v[44:45], v[12:13]
	v_fma_f64 v[42:43], v[46:47], v[12:13], -v[42:43]
	ds_write_b128 v159, v[40:43] offset:960
	;; [unrolled: 6-line block ×8, first 2 shown]
	s_waitcnt vmcnt(0)
	v_mul_f64 v[40:41], v[82:83], v[34:35]
	v_mul_f64 v[42:43], v[80:81], v[34:35]
	v_fmac_f64_e32 v[40:41], v[80:81], v[32:33]
	v_fma_f64 v[42:43], v[82:83], v[32:33], -v[42:43]
	ds_write_b128 v159, v[52:55]
	ds_write_b128 v159, v[40:43] offset:4320
	s_waitcnt lgkmcnt(0)
	; wave barrier
	s_waitcnt lgkmcnt(0)
	ds_read_b128 v[40:43], v159
	ds_read_b128 v[44:47], v159 offset:480
	ds_read_b128 v[78:81], v159 offset:960
	;; [unrolled: 1-line block ×9, first 2 shown]
	s_waitcnt lgkmcnt(7)
	v_add_f64 v[64:65], v[40:41], v[78:79]
	s_waitcnt lgkmcnt(5)
	v_add_f64 v[64:65], v[64:65], v[82:83]
	;; [unrolled: 2-line block ×4, first 2 shown]
	v_add_f64 v[64:65], v[82:83], v[86:87]
	v_fma_f64 v[64:65], -0.5, v[64:65], v[40:41]
	v_add_f64 v[70:71], v[80:81], -v[92:93]
	v_fma_f64 v[68:69], s[18:19], v[70:71], v[64:65]
	v_add_f64 v[74:75], v[84:85], -v[88:89]
	v_add_f64 v[72:73], v[78:79], -v[82:83]
	;; [unrolled: 1-line block ×3, first 2 shown]
	v_fmac_f64_e32 v[64:65], s[16:17], v[70:71]
	v_fmac_f64_e32 v[68:69], s[20:21], v[74:75]
	v_add_f64 v[72:73], v[72:73], v[76:77]
	v_fmac_f64_e32 v[64:65], s[12:13], v[74:75]
	v_fmac_f64_e32 v[68:69], s[14:15], v[72:73]
	;; [unrolled: 1-line block ×3, first 2 shown]
	v_add_f64 v[72:73], v[78:79], v[90:91]
	v_fmac_f64_e32 v[40:41], -0.5, v[72:73]
	v_fma_f64 v[72:73], s[16:17], v[74:75], v[40:41]
	v_fmac_f64_e32 v[40:41], s[18:19], v[74:75]
	v_fmac_f64_e32 v[72:73], s[20:21], v[70:71]
	;; [unrolled: 1-line block ×3, first 2 shown]
	v_add_f64 v[70:71], v[42:43], v[80:81]
	v_add_f64 v[70:71], v[70:71], v[84:85]
	;; [unrolled: 1-line block ×3, first 2 shown]
	v_add_f64 v[76:77], v[82:83], -v[78:79]
	v_add_f64 v[94:95], v[86:87], -v[90:91]
	v_add_f64 v[74:75], v[70:71], v[92:93]
	v_add_f64 v[70:71], v[84:85], v[88:89]
	;; [unrolled: 1-line block ×3, first 2 shown]
	v_fma_f64 v[70:71], -0.5, v[70:71], v[42:43]
	v_add_f64 v[90:91], v[78:79], -v[90:91]
	v_fmac_f64_e32 v[72:73], s[14:15], v[76:77]
	v_fmac_f64_e32 v[40:41], s[14:15], v[76:77]
	v_fma_f64 v[76:77], s[16:17], v[90:91], v[70:71]
	v_add_f64 v[82:83], v[82:83], -v[86:87]
	v_add_f64 v[78:79], v[80:81], -v[84:85]
	;; [unrolled: 1-line block ×3, first 2 shown]
	v_fmac_f64_e32 v[70:71], s[18:19], v[90:91]
	v_fmac_f64_e32 v[76:77], s[12:13], v[82:83]
	v_add_f64 v[78:79], v[78:79], v[86:87]
	v_fmac_f64_e32 v[70:71], s[20:21], v[82:83]
	v_fmac_f64_e32 v[76:77], s[14:15], v[78:79]
	;; [unrolled: 1-line block ×3, first 2 shown]
	v_add_f64 v[78:79], v[80:81], v[92:93]
	v_fmac_f64_e32 v[42:43], -0.5, v[78:79]
	v_fma_f64 v[78:79], s[18:19], v[82:83], v[42:43]
	v_add_f64 v[80:81], v[84:85], -v[80:81]
	v_add_f64 v[84:85], v[88:89], -v[92:93]
	v_fmac_f64_e32 v[42:43], s[16:17], v[82:83]
	v_add_f64 v[82:83], v[52:53], v[56:57]
	v_add_f64 v[80:81], v[80:81], v[84:85]
	v_fma_f64 v[82:83], -0.5, v[82:83], v[44:45]
	s_waitcnt lgkmcnt(0)
	v_add_f64 v[84:85], v[50:51], -v[62:63]
	v_fmac_f64_e32 v[78:79], s[12:13], v[90:91]
	v_fmac_f64_e32 v[42:43], s[20:21], v[90:91]
	v_fma_f64 v[86:87], s[18:19], v[84:85], v[82:83]
	v_add_f64 v[88:89], v[54:55], -v[58:59]
	v_add_f64 v[90:91], v[48:49], -v[52:53]
	;; [unrolled: 1-line block ×3, first 2 shown]
	v_fmac_f64_e32 v[82:83], s[16:17], v[84:85]
	v_fmac_f64_e32 v[86:87], s[20:21], v[88:89]
	v_add_f64 v[90:91], v[90:91], v[92:93]
	v_fmac_f64_e32 v[82:83], s[12:13], v[88:89]
	v_fmac_f64_e32 v[86:87], s[14:15], v[90:91]
	;; [unrolled: 1-line block ×3, first 2 shown]
	v_add_f64 v[90:91], v[48:49], v[60:61]
	v_fmac_f64_e32 v[78:79], s[14:15], v[80:81]
	v_fmac_f64_e32 v[42:43], s[14:15], v[80:81]
	v_add_f64 v[80:81], v[44:45], v[48:49]
	v_fmac_f64_e32 v[44:45], -0.5, v[90:91]
	v_fma_f64 v[90:91], s[16:17], v[88:89], v[44:45]
	v_fmac_f64_e32 v[44:45], s[18:19], v[88:89]
	v_fmac_f64_e32 v[90:91], s[20:21], v[84:85]
	;; [unrolled: 1-line block ×3, first 2 shown]
	v_add_f64 v[84:85], v[46:47], v[50:51]
	v_add_f64 v[84:85], v[84:85], v[54:55]
	v_add_f64 v[92:93], v[52:53], -v[48:49]
	v_add_f64 v[94:95], v[56:57], -v[60:61]
	v_add_f64 v[84:85], v[84:85], v[58:59]
	v_add_f64 v[80:81], v[80:81], v[52:53]
	;; [unrolled: 1-line block ×6, first 2 shown]
	v_fmac_f64_e32 v[90:91], s[14:15], v[92:93]
	v_fmac_f64_e32 v[44:45], s[14:15], v[92:93]
	v_fma_f64 v[92:93], -0.5, v[84:85], v[46:47]
	v_add_f64 v[48:49], v[48:49], -v[60:61]
	v_add_f64 v[80:81], v[80:81], v[60:61]
	v_fma_f64 v[94:95], s[16:17], v[48:49], v[92:93]
	v_add_f64 v[52:53], v[52:53], -v[56:57]
	v_add_f64 v[56:57], v[50:51], -v[54:55]
	;; [unrolled: 1-line block ×3, first 2 shown]
	v_fmac_f64_e32 v[92:93], s[18:19], v[48:49]
	v_fmac_f64_e32 v[94:95], s[12:13], v[52:53]
	v_add_f64 v[56:57], v[56:57], v[60:61]
	v_fmac_f64_e32 v[92:93], s[20:21], v[52:53]
	v_fmac_f64_e32 v[94:95], s[14:15], v[56:57]
	;; [unrolled: 1-line block ×3, first 2 shown]
	v_add_f64 v[56:57], v[50:51], v[62:63]
	v_fmac_f64_e32 v[46:47], -0.5, v[56:57]
	v_fma_f64 v[96:97], s[18:19], v[52:53], v[46:47]
	v_add_f64 v[50:51], v[54:55], -v[50:51]
	v_add_f64 v[54:55], v[58:59], -v[62:63]
	v_fmac_f64_e32 v[46:47], s[16:17], v[52:53]
	v_fmac_f64_e32 v[96:97], s[12:13], v[48:49]
	v_add_f64 v[50:51], v[50:51], v[54:55]
	v_fmac_f64_e32 v[46:47], s[20:21], v[48:49]
	v_fmac_f64_e32 v[96:97], s[14:15], v[50:51]
	;; [unrolled: 1-line block ×3, first 2 shown]
	v_mul_f64 v[50:51], v[44:45], s[14:15]
	v_mul_f64 v[98:99], v[86:87], s[22:23]
	v_fma_f64 v[102:103], v[46:47], s[18:19], -v[50:51]
	v_mul_f64 v[50:51], v[82:83], s[22:23]
	v_mul_f64 v[106:107], v[86:87], s[12:13]
	;; [unrolled: 1-line block ×3, first 2 shown]
	v_fmac_f64_e32 v[98:99], s[20:21], v[94:95]
	v_mul_f64 v[100:101], v[96:97], s[18:19]
	v_fma_f64 v[104:105], v[92:93], s[20:21], -v[50:51]
	v_fmac_f64_e32 v[106:107], s[22:23], v[94:95]
	v_fma_f64 v[94:95], v[44:45], s[16:17], -v[46:47]
	v_mul_f64 v[44:45], v[92:93], s[22:23]
	v_add_f64 v[48:49], v[66:67], v[80:81]
	v_fmac_f64_e32 v[100:101], s[14:15], v[90:91]
	v_add_f64 v[84:85], v[64:65], v[104:105]
	v_mul_f64 v[90:91], v[90:91], s[16:17]
	v_fma_f64 v[82:83], v[82:83], s[12:13], -v[44:45]
	v_add_f64 v[44:45], v[66:67], -v[80:81]
	v_add_f64 v[80:81], v[64:65], -v[104:105]
	v_mul_lo_u16_e32 v64, 10, v156
	v_add_f64 v[60:61], v[40:41], v[102:103]
	v_add_f64 v[50:51], v[74:75], v[88:89]
	v_fmac_f64_e32 v[90:91], s[14:15], v[96:97]
	v_add_f64 v[40:41], v[40:41], -v[102:103]
	v_lshl_add_u32 v160, v64, 4, v161
	v_add_f64 v[52:53], v[68:69], v[98:99]
	v_add_f64 v[56:57], v[72:73], v[100:101]
	;; [unrolled: 1-line block ×6, first 2 shown]
	v_add_f64 v[66:67], v[68:69], -v[98:99]
	v_add_f64 v[72:73], v[72:73], -v[100:101]
	;; [unrolled: 1-line block ×7, first 2 shown]
	s_waitcnt lgkmcnt(0)
	; wave barrier
	ds_write_b128 v160, v[48:51]
	ds_write_b128 v160, v[52:55] offset:16
	ds_write_b128 v160, v[56:59] offset:32
	;; [unrolled: 1-line block ×9, first 2 shown]
	v_mul_lo_u16_sdwa v40, v156, s2 dst_sel:DWORD dst_unused:UNUSED_PAD src0_sel:BYTE_0 src1_sel:DWORD
	v_lshrrev_b16_e32 v102, 11, v40
	v_mul_lo_u16_e32 v40, 10, v102
	v_sub_u16_e32 v40, v156, v40
	v_and_b32_e32 v103, 0xff, v40
	s_movk_i32 s2, 0x90
	v_mov_b64_e32 v[40:41], s[10:11]
	v_mad_u64_u32 v[76:77], s[2:3], v103, s2, v[40:41]
	s_waitcnt lgkmcnt(0)
	; wave barrier
	s_waitcnt lgkmcnt(0)
	global_load_dwordx4 v[52:55], v[76:77], off
	global_load_dwordx4 v[48:51], v[76:77], off offset:16
	global_load_dwordx4 v[44:47], v[76:77], off offset:32
	;; [unrolled: 1-line block ×8, first 2 shown]
	ds_read_b128 v[76:79], v159
	ds_read_b128 v[84:87], v159 offset:480
	ds_read_b128 v[88:91], v159 offset:960
	;; [unrolled: 1-line block ×9, first 2 shown]
	s_waitcnt lgkmcnt(0)
	; wave barrier
	s_waitcnt lgkmcnt(0)
	s_load_dwordx2 s[2:3], s[0:1], 0x38
	s_waitcnt vmcnt(8)
	v_mul_f64 v[80:81], v[86:87], v[54:55]
	v_fma_f64 v[82:83], v[84:85], v[52:53], -v[80:81]
	s_waitcnt vmcnt(7)
	v_mul_f64 v[80:81], v[90:91], v[50:51]
	v_fma_f64 v[96:97], v[88:89], v[48:49], -v[80:81]
	s_waitcnt vmcnt(6)
	v_mul_f64 v[80:81], v[94:95], v[46:47]
	v_fma_f64 v[130:131], v[92:93], v[44:45], -v[80:81]
	s_waitcnt vmcnt(5)
	v_mul_f64 v[80:81], v[106:107], v[42:43]
	v_fma_f64 v[132:133], v[104:105], v[40:41], -v[80:81]
	v_mul_f64 v[104:105], v[104:105], v[42:43]
	s_waitcnt vmcnt(4)
	v_mul_f64 v[80:81], v[110:111], v[70:71]
	v_fmac_f64_e32 v[104:105], v[106:107], v[40:41]
	v_fma_f64 v[106:107], v[108:109], v[68:69], -v[80:81]
	s_waitcnt vmcnt(3)
	v_mul_f64 v[80:81], v[114:115], v[66:67]
	v_mul_f64 v[100:101], v[108:109], v[70:71]
	v_fma_f64 v[108:109], v[112:113], v[64:65], -v[80:81]
	s_waitcnt vmcnt(2)
	v_mul_f64 v[80:81], v[118:119], v[62:63]
	v_fmac_f64_e32 v[100:101], v[110:111], v[68:69]
	v_mul_f64 v[110:111], v[112:113], v[66:67]
	v_fma_f64 v[112:113], v[116:117], v[60:61], -v[80:81]
	s_waitcnt vmcnt(1)
	v_mul_f64 v[80:81], v[122:123], v[58:59]
	v_fmac_f64_e32 v[110:111], v[114:115], v[64:65]
	;; [unrolled: 5-line block ×3, first 2 shown]
	v_mul_f64 v[118:119], v[120:121], v[58:59]
	v_fma_f64 v[120:121], v[124:125], v[72:73], -v[80:81]
	v_add_f64 v[80:81], v[76:77], v[96:97]
	v_add_f64 v[80:81], v[80:81], v[132:133]
	v_mul_f64 v[128:129], v[88:89], v[50:51]
	v_add_f64 v[80:81], v[80:81], v[108:109]
	v_mul_f64 v[84:85], v[84:85], v[54:55]
	v_fmac_f64_e32 v[128:129], v[90:91], v[48:49]
	v_fmac_f64_e32 v[118:119], v[122:123], v[56:57]
	v_add_f64 v[88:89], v[80:81], v[116:117]
	v_add_f64 v[80:81], v[132:133], v[108:109]
	v_fmac_f64_e32 v[84:85], v[86:87], v[52:53]
	v_mul_f64 v[98:99], v[92:93], v[46:47]
	v_fma_f64 v[86:87], -0.5, v[80:81], v[76:77]
	v_add_f64 v[80:81], v[128:129], -v[118:119]
	v_fmac_f64_e32 v[98:99], v[94:95], v[44:45]
	v_mul_f64 v[122:123], v[124:125], v[74:75]
	v_fma_f64 v[90:91], s[18:19], v[80:81], v[86:87]
	v_add_f64 v[92:93], v[104:105], -v[110:111]
	v_add_f64 v[94:95], v[96:97], -v[132:133]
	;; [unrolled: 1-line block ×3, first 2 shown]
	v_fmac_f64_e32 v[86:87], s[16:17], v[80:81]
	v_fmac_f64_e32 v[90:91], s[20:21], v[92:93]
	v_add_f64 v[94:95], v[94:95], v[124:125]
	v_fmac_f64_e32 v[86:87], s[12:13], v[92:93]
	v_fmac_f64_e32 v[90:91], s[14:15], v[94:95]
	;; [unrolled: 1-line block ×3, first 2 shown]
	v_add_f64 v[94:95], v[96:97], v[116:117]
	v_fmac_f64_e32 v[76:77], -0.5, v[94:95]
	v_fma_f64 v[94:95], s[16:17], v[92:93], v[76:77]
	v_fmac_f64_e32 v[76:77], s[18:19], v[92:93]
	v_fmac_f64_e32 v[94:95], s[20:21], v[80:81]
	v_fmac_f64_e32 v[76:77], s[12:13], v[80:81]
	v_add_f64 v[80:81], v[78:79], v[128:129]
	v_add_f64 v[80:81], v[80:81], v[104:105]
	;; [unrolled: 1-line block ×3, first 2 shown]
	v_fmac_f64_e32 v[122:123], v[126:127], v[72:73]
	v_add_f64 v[124:125], v[132:133], -v[96:97]
	v_add_f64 v[126:127], v[108:109], -v[116:117]
	v_add_f64 v[92:93], v[80:81], v[118:119]
	v_add_f64 v[80:81], v[104:105], v[110:111]
	;; [unrolled: 1-line block ×3, first 2 shown]
	v_fma_f64 v[80:81], -0.5, v[80:81], v[78:79]
	v_add_f64 v[116:117], v[96:97], -v[116:117]
	v_fmac_f64_e32 v[94:95], s[14:15], v[124:125]
	v_fmac_f64_e32 v[76:77], s[14:15], v[124:125]
	v_fma_f64 v[96:97], s[16:17], v[116:117], v[80:81]
	v_add_f64 v[108:109], v[132:133], -v[108:109]
	v_add_f64 v[124:125], v[128:129], -v[104:105]
	;; [unrolled: 1-line block ×3, first 2 shown]
	v_fmac_f64_e32 v[80:81], s[18:19], v[116:117]
	v_fmac_f64_e32 v[96:97], s[12:13], v[108:109]
	v_add_f64 v[124:125], v[124:125], v[126:127]
	v_fmac_f64_e32 v[80:81], s[20:21], v[108:109]
	v_fmac_f64_e32 v[96:97], s[14:15], v[124:125]
	;; [unrolled: 1-line block ×3, first 2 shown]
	v_add_f64 v[124:125], v[128:129], v[118:119]
	v_fmac_f64_e32 v[78:79], -0.5, v[124:125]
	v_fma_f64 v[124:125], s[18:19], v[108:109], v[78:79]
	v_add_f64 v[104:105], v[104:105], -v[128:129]
	v_add_f64 v[110:111], v[110:111], -v[118:119]
	v_fmac_f64_e32 v[78:79], s[16:17], v[108:109]
	v_fmac_f64_e32 v[124:125], s[12:13], v[116:117]
	v_add_f64 v[104:105], v[104:105], v[110:111]
	v_fmac_f64_e32 v[78:79], s[20:21], v[116:117]
	v_fmac_f64_e32 v[124:125], s[14:15], v[104:105]
	;; [unrolled: 1-line block ×3, first 2 shown]
	v_add_f64 v[104:105], v[82:83], v[130:131]
	v_add_f64 v[104:105], v[104:105], v[106:107]
	;; [unrolled: 1-line block ×5, first 2 shown]
	v_fma_f64 v[118:119], -0.5, v[104:105], v[82:83]
	v_add_f64 v[104:105], v[98:99], -v[122:123]
	v_fma_f64 v[110:111], s[18:19], v[104:105], v[118:119]
	v_add_f64 v[108:109], v[100:101], -v[114:115]
	v_add_f64 v[126:127], v[130:131], -v[106:107]
	;; [unrolled: 1-line block ×3, first 2 shown]
	v_fmac_f64_e32 v[118:119], s[16:17], v[104:105]
	v_fmac_f64_e32 v[110:111], s[20:21], v[108:109]
	v_add_f64 v[126:127], v[126:127], v[128:129]
	v_fmac_f64_e32 v[118:119], s[12:13], v[108:109]
	v_fmac_f64_e32 v[110:111], s[14:15], v[126:127]
	;; [unrolled: 1-line block ×3, first 2 shown]
	v_add_f64 v[126:127], v[130:131], v[120:121]
	v_fmac_f64_e32 v[82:83], -0.5, v[126:127]
	v_fma_f64 v[126:127], s[16:17], v[108:109], v[82:83]
	v_fmac_f64_e32 v[82:83], s[18:19], v[108:109]
	v_fmac_f64_e32 v[126:127], s[20:21], v[104:105]
	;; [unrolled: 1-line block ×3, first 2 shown]
	v_add_f64 v[104:105], v[84:85], v[98:99]
	v_add_f64 v[128:129], v[106:107], -v[130:131]
	v_add_f64 v[132:133], v[112:113], -v[120:121]
	v_add_f64 v[104:105], v[104:105], v[100:101]
	v_add_f64 v[128:129], v[128:129], v[132:133]
	;; [unrolled: 1-line block ×3, first 2 shown]
	v_fmac_f64_e32 v[126:127], s[14:15], v[128:129]
	v_fmac_f64_e32 v[82:83], s[14:15], v[128:129]
	v_add_f64 v[128:129], v[104:105], v[122:123]
	v_add_f64 v[104:105], v[100:101], v[114:115]
	v_fma_f64 v[132:133], -0.5, v[104:105], v[84:85]
	v_add_f64 v[104:105], v[130:131], -v[120:121]
	v_fma_f64 v[130:131], s[16:17], v[104:105], v[132:133]
	v_add_f64 v[106:107], v[106:107], -v[112:113]
	v_add_f64 v[108:109], v[98:99], -v[100:101]
	;; [unrolled: 1-line block ×3, first 2 shown]
	v_fmac_f64_e32 v[132:133], s[18:19], v[104:105]
	v_fmac_f64_e32 v[130:131], s[12:13], v[106:107]
	v_add_f64 v[108:109], v[108:109], v[112:113]
	v_fmac_f64_e32 v[132:133], s[20:21], v[106:107]
	v_fmac_f64_e32 v[130:131], s[14:15], v[108:109]
	;; [unrolled: 1-line block ×3, first 2 shown]
	v_add_f64 v[108:109], v[98:99], v[122:123]
	v_fmac_f64_e32 v[84:85], -0.5, v[108:109]
	v_fma_f64 v[134:135], s[18:19], v[106:107], v[84:85]
	v_add_f64 v[98:99], v[100:101], -v[98:99]
	v_add_f64 v[100:101], v[114:115], -v[122:123]
	v_fmac_f64_e32 v[84:85], s[16:17], v[106:107]
	v_add_f64 v[98:99], v[98:99], v[100:101]
	v_fmac_f64_e32 v[84:85], s[20:21], v[104:105]
	v_fmac_f64_e32 v[84:85], s[14:15], v[98:99]
	v_mul_f64 v[100:101], v[82:83], s[14:15]
	v_fma_f64 v[140:141], v[84:85], s[18:19], -v[100:101]
	v_mul_f64 v[144:145], v[110:111], s[12:13]
	v_mul_f64 v[84:85], v[84:85], s[14:15]
	v_fmac_f64_e32 v[134:135], s[12:13], v[104:105]
	v_mul_f64 v[136:137], v[130:131], s[20:21]
	v_fmac_f64_e32 v[144:145], s[22:23], v[130:131]
	v_fma_f64 v[130:131], v[82:83], s[16:17], -v[84:85]
	v_mul_f64 v[82:83], v[132:133], s[22:23]
	v_fmac_f64_e32 v[134:135], s[14:15], v[98:99]
	v_mul_f64 v[100:101], v[118:119], s[22:23]
	v_fma_f64 v[118:119], v[118:119], s[12:13], -v[82:83]
	v_mul_f64 v[138:139], v[134:135], s[18:19]
	v_add_f64 v[122:123], v[80:81], v[118:119]
	v_add_f64 v[118:119], v[80:81], -v[118:119]
	v_mul_u32_u24_e32 v80, 0x64, v102
	v_fmac_f64_e32 v[138:139], s[14:15], v[126:127]
	v_fma_f64 v[142:143], v[132:133], s[20:21], -v[100:101]
	v_mul_f64 v[126:127], v[126:127], s[16:17]
	v_add_u32_e32 v80, v80, v103
	v_add_f64 v[98:99], v[88:89], v[116:117]
	v_fmac_f64_e32 v[136:137], s[22:23], v[110:111]
	v_add_f64 v[120:121], v[86:87], v[142:143]
	v_add_f64 v[100:101], v[92:93], v[128:129]
	v_fmac_f64_e32 v[126:127], s[14:15], v[134:135]
	v_lshl_add_u32 v162, v80, 4, v161
	v_add_f64 v[104:105], v[90:91], v[136:137]
	v_add_f64 v[108:109], v[94:95], v[138:139]
	;; [unrolled: 1-line block ×6, first 2 shown]
	v_add_f64 v[82:83], v[88:89], -v[116:117]
	v_add_f64 v[88:89], v[90:91], -v[136:137]
	;; [unrolled: 1-line block ×9, first 2 shown]
	ds_write_b128 v162, v[98:101]
	ds_write_b128 v162, v[104:107] offset:160
	ds_write_b128 v162, v[108:111] offset:320
	ds_write_b128 v162, v[112:115] offset:480
	ds_write_b128 v162, v[120:123] offset:640
	ds_write_b128 v162, v[82:85] offset:800
	ds_write_b128 v162, v[88:91] offset:960
	ds_write_b128 v162, v[94:97] offset:1120
	ds_write_b128 v162, v[76:79] offset:1280
	ds_write_b128 v162, v[116:119] offset:1440
	s_waitcnt lgkmcnt(0)
	; wave barrier
	s_waitcnt lgkmcnt(0)
	ds_read_b128 v[128:131], v159
	ds_read_b128 v[124:127], v159 offset:480
	ds_read_b128 v[148:151], v159 offset:3200
	;; [unrolled: 1-line block ×8, first 2 shown]
                                        ; implicit-def: $vgpr108_vgpr109
                                        ; implicit-def: $vgpr112_vgpr113
	s_and_saveexec_b64 s[0:1], vcc
	s_cbranch_execz .LBB0_3
; %bb.2:
	ds_read_b128 v[116:119], v159 offset:1440
	ds_read_b128 v[108:111], v159 offset:3040
	;; [unrolled: 1-line block ×3, first 2 shown]
.LBB0_3:
	s_or_b64 exec, exec, s[0:1]
	v_lshlrev_b32_e32 v76, 5, v156
	global_load_dwordx4 v[88:91], v76, s[10:11] offset:1440
	global_load_dwordx4 v[84:87], v76, s[10:11] offset:1456
	v_add_u32_e32 v77, 0x3c0, v76
	v_add_u32_e32 v76, 0x780, v76
	s_mov_b64 s[0:1], 0x5a
	global_load_dwordx4 v[96:99], v77, s[10:11] offset:1440
	global_load_dwordx4 v[92:95], v77, s[10:11] offset:1456
	global_load_dwordx4 v[104:107], v76, s[10:11] offset:1440
	global_load_dwordx4 v[100:103], v76, s[10:11] offset:1456
	v_lshl_add_u64 v[76:77], v[156:157], 0, -10
	v_lshl_add_u64 v[78:79], v[156:157], 0, s[0:1]
	v_cndmask_b32_e32 v77, v77, v79, vcc
	v_cndmask_b32_e32 v76, v76, v78, vcc
	v_lshlrev_b64 v[76:77], 5, v[76:77]
	v_lshl_add_u64 v[76:77], s[10:11], 0, v[76:77]
	global_load_dwordx4 v[80:83], v[76:77], off offset:1440
	s_nop 0
	global_load_dwordx4 v[76:79], v[76:77], off offset:1456
	s_mov_b32 s0, 0xe8584caa
	s_mov_b32 s1, 0x3febb67a
	;; [unrolled: 1-line block ×4, first 2 shown]
	s_waitcnt vmcnt(7) lgkmcnt(4)
	v_mul_f64 v[164:165], v[154:155], v[90:91]
	s_waitcnt vmcnt(6)
	v_mul_f64 v[168:169], v[150:151], v[86:87]
	v_mul_f64 v[166:167], v[152:153], v[90:91]
	;; [unrolled: 1-line block ×3, first 2 shown]
	v_fma_f64 v[152:153], v[152:153], v[88:89], -v[164:165]
	v_fma_f64 v[148:149], v[148:149], v[84:85], -v[168:169]
	s_waitcnt vmcnt(4)
	v_mul_f64 v[168:169], v[132:133], v[94:95]
	s_waitcnt vmcnt(3) lgkmcnt(1)
	v_mul_f64 v[172:173], v[142:143], v[106:107]
	s_waitcnt vmcnt(2) lgkmcnt(0)
	v_mul_f64 v[176:177], v[138:139], v[102:103]
	v_fmac_f64_e32 v[166:167], v[154:155], v[88:89]
	v_fmac_f64_e32 v[170:171], v[150:151], v[84:85]
	v_mul_f64 v[150:151], v[146:147], v[98:99]
	v_mul_f64 v[154:155], v[144:145], v[98:99]
	;; [unrolled: 1-line block ×5, first 2 shown]
	v_fmac_f64_e32 v[168:169], v[134:135], v[92:93]
	v_fma_f64 v[172:173], v[140:141], v[104:105], -v[172:173]
	v_fma_f64 v[176:177], v[136:137], v[100:101], -v[176:177]
	v_add_f64 v[134:135], v[152:153], v[148:149]
	v_fma_f64 v[144:145], v[144:145], v[96:97], -v[150:151]
	v_fmac_f64_e32 v[154:155], v[146:147], v[96:97]
	v_fma_f64 v[150:151], v[132:133], v[92:93], -v[164:165]
	v_fmac_f64_e32 v[174:175], v[142:143], v[104:105]
	v_fmac_f64_e32 v[178:179], v[138:139], v[100:101]
	v_add_f64 v[132:133], v[128:129], v[152:153]
	v_add_f64 v[136:137], v[166:167], -v[170:171]
	v_add_f64 v[138:139], v[130:131], v[166:167]
	v_fmac_f64_e32 v[128:129], -0.5, v[134:135]
	v_add_f64 v[184:185], v[172:173], v[176:177]
	s_waitcnt vmcnt(1)
	v_mul_f64 v[186:187], v[110:111], v[82:83]
	v_add_f64 v[146:147], v[166:167], v[170:171]
	v_add_f64 v[140:141], v[132:133], v[148:149]
	;; [unrolled: 1-line block ×6, first 2 shown]
	v_add_f64 v[180:181], v[144:145], -v[150:151]
	v_add_f64 v[182:183], v[120:121], v[172:173]
	v_mul_f64 v[132:133], v[108:109], v[82:83]
	v_fma_f64 v[144:145], s[0:1], v[136:137], v[128:129]
	v_fmac_f64_e32 v[128:129], s[10:11], v[136:137]
	v_fmac_f64_e32 v[120:121], -0.5, v[184:185]
	v_fma_f64 v[136:137], v[108:109], v[80:81], -v[186:187]
	v_add_f64 v[108:109], v[174:175], -v[178:179]
	v_add_f64 v[152:153], v[152:153], -v[148:149]
	;; [unrolled: 1-line block ×3, first 2 shown]
	v_add_f64 v[154:155], v[154:155], v[168:169]
	v_add_f64 v[148:149], v[138:139], v[150:151]
	;; [unrolled: 1-line block ×3, first 2 shown]
	v_fma_f64 v[168:169], s[0:1], v[108:109], v[120:121]
	v_fmac_f64_e32 v[120:121], s[10:11], v[108:109]
	v_add_f64 v[108:109], v[122:123], v[174:175]
	s_waitcnt vmcnt(0)
	v_mul_f64 v[188:189], v[114:115], v[78:79]
	v_fmac_f64_e32 v[126:127], -0.5, v[154:155]
	v_add_f64 v[154:155], v[108:109], v[178:179]
	v_add_f64 v[108:109], v[174:175], v[178:179]
	v_mul_f64 v[134:135], v[112:113], v[78:79]
	v_fma_f64 v[138:139], v[112:113], v[76:77], -v[188:189]
	v_fmac_f64_e32 v[122:123], -0.5, v[108:109]
	v_add_f64 v[108:109], v[172:173], -v[176:177]
	v_fmac_f64_e32 v[132:133], v[110:111], v[80:81]
	v_fmac_f64_e32 v[134:135], v[114:115], v[76:77]
	v_fma_f64 v[170:171], s[10:11], v[108:109], v[122:123]
	v_fmac_f64_e32 v[122:123], s[0:1], v[108:109]
	v_add_f64 v[108:109], v[136:137], v[138:139]
	v_fma_f64 v[112:113], -0.5, v[108:109], v[116:117]
	v_add_f64 v[110:111], v[132:133], -v[134:135]
	v_fma_f64 v[108:109], s[0:1], v[110:111], v[112:113]
	v_fmac_f64_e32 v[112:113], s[10:11], v[110:111]
	v_add_f64 v[110:111], v[132:133], v[134:135]
	v_fmac_f64_e32 v[130:131], -0.5, v[146:147]
	v_fma_f64 v[114:115], -0.5, v[110:111], v[118:119]
	v_add_f64 v[172:173], v[136:137], -v[138:139]
	v_fma_f64 v[146:147], s[10:11], v[152:153], v[130:131]
	v_fmac_f64_e32 v[124:125], -0.5, v[164:165]
	v_fma_f64 v[110:111], s[10:11], v[172:173], v[114:115]
	v_fmac_f64_e32 v[114:115], s[0:1], v[172:173]
	ds_write_b128 v159, v[140:143]
	v_lshl_add_u32 v140, v156, 4, v161
	v_fmac_f64_e32 v[130:131], s[0:1], v[152:153]
	v_add_f64 v[152:153], v[182:183], v[176:177]
	v_fma_f64 v[164:165], s[0:1], v[166:167], v[124:125]
	v_fmac_f64_e32 v[124:125], s[10:11], v[166:167]
	v_fma_f64 v[166:167], s[10:11], v[180:181], v[126:127]
	v_fmac_f64_e32 v[126:127], s[0:1], v[180:181]
	ds_write_b128 v140, v[144:147] offset:1600
	ds_write_b128 v140, v[128:131] offset:3200
	;; [unrolled: 1-line block ×8, first 2 shown]
	s_and_saveexec_b64 s[0:1], vcc
	s_cbranch_execz .LBB0_5
; %bb.4:
	v_add_f64 v[118:119], v[118:119], v[132:133]
	v_add_f64 v[116:117], v[116:117], v[136:137]
	;; [unrolled: 1-line block ×4, first 2 shown]
	ds_write_b128 v159, v[116:119] offset:1440
	ds_write_b128 v140, v[108:111] offset:3040
	;; [unrolled: 1-line block ×3, first 2 shown]
.LBB0_5:
	s_or_b64 exec, exec, s[0:1]
	v_lshlrev_b32_e32 v116, 4, v156
	v_mov_b32_e32 v117, 0
	v_lshl_add_u64 v[128:129], s[8:9], 0, v[116:117]
	s_movk_i32 s0, 0x1000
	v_add_co_u32_e64 v116, s[0:1], s0, v128
	s_mov_b64 s[8:9], 0x12c0
	s_nop 0
	v_addc_co_u32_e64 v117, s[0:1], 0, v129, s[0:1]
	s_movk_i32 s0, 0x2000
	v_lshl_add_u64 v[138:139], v[128:129], 0, s[8:9]
	v_add_co_u32_e64 v128, s[0:1], s0, v128
	s_waitcnt lgkmcnt(0)
	s_nop 0
	v_addc_co_u32_e64 v129, s[0:1], 0, v129, s[0:1]
	; wave barrier
	global_load_dwordx4 v[116:119], v[116:117], off offset:704
	s_nop 0
	global_load_dwordx4 v[120:123], v[138:139], off offset:480
	global_load_dwordx4 v[124:127], v[138:139], off offset:960
	;; [unrolled: 1-line block ×9, first 2 shown]
	ds_read_b128 v[172:175], v159
	ds_read_b128 v[176:179], v159 offset:480
	ds_read_b128 v[180:183], v159 offset:960
	;; [unrolled: 1-line block ×9, first 2 shown]
	s_mov_b32 s12, 0x134454ff
	s_mov_b32 s13, 0xbfee6f0e
	;; [unrolled: 1-line block ×16, first 2 shown]
	s_waitcnt vmcnt(8) lgkmcnt(8)
	v_mul_f64 v[216:217], v[178:179], v[122:123]
	s_waitcnt vmcnt(7) lgkmcnt(7)
	v_mul_f64 v[218:219], v[182:183], v[126:127]
	;; [unrolled: 2-line block ×3, first 2 shown]
	v_mul_f64 v[138:139], v[184:185], v[132:133]
	s_waitcnt vmcnt(5) lgkmcnt(5)
	v_mul_f64 v[222:223], v[190:191], v[136:137]
	v_mul_f64 v[132:133], v[188:189], v[136:137]
	;; [unrolled: 1-line block ×6, first 2 shown]
	s_waitcnt vmcnt(4) lgkmcnt(4)
	v_mul_f64 v[224:225], v[194:195], v[144:145]
	v_mul_f64 v[154:155], v[192:193], v[144:145]
	s_waitcnt vmcnt(3) lgkmcnt(3)
	v_mul_f64 v[226:227], v[198:199], v[148:149]
	v_mul_f64 v[144:145], v[196:197], v[148:149]
	;; [unrolled: 3-line block ×5, first 2 shown]
	v_fma_f64 v[126:127], v[172:173], v[116:117], -v[212:213]
	v_fmac_f64_e32 v[128:129], v[174:175], v[116:117]
	v_fma_f64 v[116:117], v[176:177], v[120:121], -v[216:217]
	v_fmac_f64_e32 v[118:119], v[178:179], v[120:121]
	;; [unrolled: 2-line block ×10, first 2 shown]
	ds_write_b128 v159, v[126:129]
	ds_write_b128 v159, v[116:119] offset:480
	ds_write_b128 v159, v[120:123] offset:960
	;; [unrolled: 1-line block ×9, first 2 shown]
	s_waitcnt lgkmcnt(0)
	; wave barrier
	s_waitcnt lgkmcnt(0)
	ds_read_b128 v[116:119], v159
	ds_read_b128 v[120:123], v159 offset:480
	ds_read_b128 v[124:127], v159 offset:960
	;; [unrolled: 1-line block ×9, first 2 shown]
	s_waitcnt lgkmcnt(5)
	v_add_f64 v[176:177], v[124:125], -v[132:133]
	s_waitcnt lgkmcnt(3)
	v_add_f64 v[168:169], v[132:133], v[142:143]
	v_fma_f64 v[168:169], -0.5, v[168:169], v[116:117]
	s_waitcnt lgkmcnt(1)
	v_add_f64 v[170:171], v[126:127], -v[152:153]
	v_fma_f64 v[172:173], s[12:13], v[170:171], v[168:169]
	v_add_f64 v[174:175], v[134:135], -v[144:145]
	v_add_f64 v[178:179], v[150:151], -v[142:143]
	v_fmac_f64_e32 v[168:169], s[8:9], v[170:171]
	v_fmac_f64_e32 v[172:173], s[14:15], v[174:175]
	v_add_f64 v[176:177], v[176:177], v[178:179]
	v_fmac_f64_e32 v[168:169], s[0:1], v[174:175]
	v_fmac_f64_e32 v[172:173], s[10:11], v[176:177]
	v_fmac_f64_e32 v[168:169], s[10:11], v[176:177]
	v_add_f64 v[176:177], v[124:125], v[150:151]
	v_add_f64 v[154:155], v[116:117], v[124:125]
	v_fmac_f64_e32 v[116:117], -0.5, v[176:177]
	v_add_f64 v[154:155], v[154:155], v[132:133]
	v_fma_f64 v[176:177], s[8:9], v[174:175], v[116:117]
	v_add_f64 v[178:179], v[132:133], -v[124:125]
	v_add_f64 v[180:181], v[142:143], -v[150:151]
	v_fmac_f64_e32 v[116:117], s[12:13], v[174:175]
	v_add_f64 v[174:175], v[134:135], v[144:145]
	v_add_f64 v[154:155], v[154:155], v[142:143]
	v_fmac_f64_e32 v[176:177], s[14:15], v[170:171]
	v_add_f64 v[178:179], v[178:179], v[180:181]
	v_fmac_f64_e32 v[116:117], s[0:1], v[170:171]
	v_fma_f64 v[174:175], -0.5, v[174:175], v[118:119]
	v_add_f64 v[124:125], v[124:125], -v[150:151]
	v_add_f64 v[154:155], v[154:155], v[150:151]
	v_fmac_f64_e32 v[176:177], s[10:11], v[178:179]
	v_fmac_f64_e32 v[116:117], s[10:11], v[178:179]
	v_fma_f64 v[178:179], s[8:9], v[124:125], v[174:175]
	v_add_f64 v[132:133], v[132:133], -v[142:143]
	v_add_f64 v[142:143], v[126:127], -v[134:135]
	;; [unrolled: 1-line block ×3, first 2 shown]
	v_fmac_f64_e32 v[174:175], s[12:13], v[124:125]
	v_fmac_f64_e32 v[178:179], s[0:1], v[132:133]
	v_add_f64 v[142:143], v[142:143], v[150:151]
	v_fmac_f64_e32 v[174:175], s[14:15], v[132:133]
	v_fmac_f64_e32 v[178:179], s[10:11], v[142:143]
	;; [unrolled: 1-line block ×3, first 2 shown]
	v_add_f64 v[142:143], v[126:127], v[152:153]
	v_add_f64 v[170:171], v[118:119], v[126:127]
	v_fmac_f64_e32 v[118:119], -0.5, v[142:143]
	v_fma_f64 v[180:181], s[12:13], v[132:133], v[118:119]
	v_fmac_f64_e32 v[118:119], s[8:9], v[132:133]
	v_fmac_f64_e32 v[180:181], s[0:1], v[124:125]
	;; [unrolled: 1-line block ×3, first 2 shown]
	v_add_f64 v[124:125], v[120:121], v[128:129]
	v_add_f64 v[124:125], v[124:125], v[136:137]
	;; [unrolled: 1-line block ×4, first 2 shown]
	v_add_f64 v[126:127], v[134:135], -v[126:127]
	v_add_f64 v[134:135], v[144:145], -v[152:153]
	s_waitcnt lgkmcnt(0)
	v_add_f64 v[150:151], v[124:125], v[164:165]
	v_add_f64 v[124:125], v[136:137], v[146:147]
	;; [unrolled: 1-line block ×4, first 2 shown]
	v_fma_f64 v[144:145], -0.5, v[124:125], v[120:121]
	v_add_f64 v[124:125], v[130:131], -v[166:167]
	v_fmac_f64_e32 v[180:181], s[10:11], v[126:127]
	v_fmac_f64_e32 v[118:119], s[10:11], v[126:127]
	v_fma_f64 v[134:135], s[12:13], v[124:125], v[144:145]
	v_add_f64 v[126:127], v[138:139], -v[148:149]
	v_add_f64 v[132:133], v[128:129], -v[136:137]
	;; [unrolled: 1-line block ×3, first 2 shown]
	v_fmac_f64_e32 v[144:145], s[8:9], v[124:125]
	v_fmac_f64_e32 v[134:135], s[14:15], v[126:127]
	v_add_f64 v[132:133], v[132:133], v[142:143]
	v_fmac_f64_e32 v[144:145], s[0:1], v[126:127]
	v_fmac_f64_e32 v[134:135], s[10:11], v[132:133]
	;; [unrolled: 1-line block ×3, first 2 shown]
	v_add_f64 v[132:133], v[128:129], v[164:165]
	v_fmac_f64_e32 v[120:121], -0.5, v[132:133]
	v_add_f64 v[170:171], v[170:171], v[152:153]
	v_fma_f64 v[152:153], s[8:9], v[126:127], v[120:121]
	v_fmac_f64_e32 v[120:121], s[12:13], v[126:127]
	v_fmac_f64_e32 v[152:153], s[14:15], v[124:125]
	v_fmac_f64_e32 v[120:121], s[0:1], v[124:125]
	v_add_f64 v[124:125], v[122:123], v[130:131]
	v_add_f64 v[124:125], v[124:125], v[138:139]
	;; [unrolled: 1-line block ×3, first 2 shown]
	v_add_f64 v[132:133], v[136:137], -v[128:129]
	v_add_f64 v[142:143], v[146:147], -v[164:165]
	v_add_f64 v[182:183], v[124:125], v[166:167]
	v_add_f64 v[124:125], v[138:139], v[148:149]
	;; [unrolled: 1-line block ×3, first 2 shown]
	v_fma_f64 v[184:185], -0.5, v[124:125], v[122:123]
	v_add_f64 v[124:125], v[128:129], -v[164:165]
	v_fmac_f64_e32 v[152:153], s[10:11], v[132:133]
	v_fmac_f64_e32 v[120:121], s[10:11], v[132:133]
	v_fma_f64 v[164:165], s[8:9], v[124:125], v[184:185]
	v_add_f64 v[126:127], v[136:137], -v[146:147]
	v_add_f64 v[128:129], v[130:131], -v[138:139]
	;; [unrolled: 1-line block ×3, first 2 shown]
	v_fmac_f64_e32 v[184:185], s[12:13], v[124:125]
	v_fmac_f64_e32 v[164:165], s[0:1], v[126:127]
	v_add_f64 v[128:129], v[128:129], v[132:133]
	v_fmac_f64_e32 v[184:185], s[14:15], v[126:127]
	v_fmac_f64_e32 v[164:165], s[10:11], v[128:129]
	;; [unrolled: 1-line block ×3, first 2 shown]
	v_add_f64 v[128:129], v[130:131], v[166:167]
	v_fmac_f64_e32 v[122:123], -0.5, v[128:129]
	v_fma_f64 v[146:147], s[12:13], v[126:127], v[122:123]
	v_add_f64 v[128:129], v[138:139], -v[130:131]
	v_add_f64 v[130:131], v[148:149], -v[166:167]
	v_fmac_f64_e32 v[122:123], s[8:9], v[126:127]
	v_fmac_f64_e32 v[146:147], s[0:1], v[124:125]
	v_add_f64 v[128:129], v[128:129], v[130:131]
	v_fmac_f64_e32 v[122:123], s[14:15], v[124:125]
	v_fmac_f64_e32 v[146:147], s[10:11], v[128:129]
	;; [unrolled: 1-line block ×3, first 2 shown]
	v_mul_f64 v[148:149], v[164:165], s[14:15]
	v_mul_f64 v[166:167], v[146:147], s[12:13]
	;; [unrolled: 1-line block ×8, first 2 shown]
	v_fmac_f64_e32 v[148:149], s[16:17], v[134:135]
	v_fmac_f64_e32 v[166:167], s[10:11], v[152:153]
	;; [unrolled: 1-line block ×8, first 2 shown]
	v_add_f64 v[124:125], v[154:155], v[150:151]
	v_add_f64 v[128:129], v[172:173], v[148:149]
	;; [unrolled: 1-line block ×10, first 2 shown]
	v_add_f64 v[120:121], v[154:155], -v[150:151]
	v_add_f64 v[146:147], v[172:173], -v[148:149]
	;; [unrolled: 1-line block ×10, first 2 shown]
	s_waitcnt lgkmcnt(0)
	; wave barrier
	ds_write_b128 v160, v[124:127]
	ds_write_b128 v160, v[128:131] offset:16
	ds_write_b128 v160, v[132:135] offset:32
	;; [unrolled: 1-line block ×9, first 2 shown]
	s_waitcnt lgkmcnt(0)
	; wave barrier
	s_waitcnt lgkmcnt(0)
	ds_read_b128 v[116:119], v159
	ds_read_b128 v[120:123], v159 offset:480
	ds_read_b128 v[124:127], v159 offset:960
	;; [unrolled: 1-line block ×9, first 2 shown]
	s_waitcnt lgkmcnt(8)
	v_mul_f64 v[154:155], v[54:55], v[122:123]
	v_mul_f64 v[54:55], v[54:55], v[120:121]
	v_fmac_f64_e32 v[154:155], v[52:53], v[120:121]
	v_fma_f64 v[120:121], v[52:53], v[122:123], -v[54:55]
	s_waitcnt lgkmcnt(7)
	v_mul_f64 v[52:53], v[50:51], v[126:127]
	v_mul_f64 v[50:51], v[50:51], v[124:125]
	v_fmac_f64_e32 v[52:53], v[48:49], v[124:125]
	v_fma_f64 v[48:49], v[48:49], v[126:127], -v[50:51]
	;; [unrolled: 5-line block ×8, first 2 shown]
	s_waitcnt lgkmcnt(0)
	v_mul_f64 v[58:59], v[74:75], v[166:167]
	v_mul_f64 v[70:71], v[74:75], v[164:165]
	v_add_f64 v[74:75], v[46:47], v[68:69]
	v_fma_f64 v[74:75], -0.5, v[74:75], v[116:117]
	v_add_f64 v[122:123], v[48:49], -v[56:57]
	v_fma_f64 v[124:125], s[12:13], v[122:123], v[74:75]
	v_add_f64 v[126:127], v[40:41], -v[64:65]
	v_add_f64 v[128:129], v[52:53], -v[46:47]
	;; [unrolled: 1-line block ×3, first 2 shown]
	v_fmac_f64_e32 v[74:75], s[8:9], v[122:123]
	v_fmac_f64_e32 v[124:125], s[14:15], v[126:127]
	v_add_f64 v[128:129], v[128:129], v[130:131]
	v_fmac_f64_e32 v[74:75], s[0:1], v[126:127]
	v_fmac_f64_e32 v[124:125], s[10:11], v[128:129]
	;; [unrolled: 1-line block ×3, first 2 shown]
	v_add_f64 v[128:129], v[52:53], v[62:63]
	v_fmac_f64_e32 v[58:59], v[72:73], v[164:165]
	v_fma_f64 v[70:71], v[72:73], v[166:167], -v[70:71]
	v_add_f64 v[72:73], v[116:117], v[52:53]
	v_fmac_f64_e32 v[116:117], -0.5, v[128:129]
	v_add_f64 v[72:73], v[72:73], v[46:47]
	v_fma_f64 v[128:129], s[8:9], v[126:127], v[116:117]
	v_add_f64 v[130:131], v[46:47], -v[52:53]
	v_add_f64 v[132:133], v[68:69], -v[62:63]
	v_fmac_f64_e32 v[116:117], s[12:13], v[126:127]
	v_add_f64 v[126:127], v[40:41], v[64:65]
	v_add_f64 v[72:73], v[72:73], v[68:69]
	v_fmac_f64_e32 v[128:129], s[14:15], v[122:123]
	v_add_f64 v[130:131], v[130:131], v[132:133]
	v_fmac_f64_e32 v[116:117], s[0:1], v[122:123]
	v_fma_f64 v[126:127], -0.5, v[126:127], v[118:119]
	v_add_f64 v[52:53], v[52:53], -v[62:63]
	v_add_f64 v[72:73], v[72:73], v[62:63]
	v_fmac_f64_e32 v[128:129], s[10:11], v[130:131]
	v_fmac_f64_e32 v[116:117], s[10:11], v[130:131]
	v_fma_f64 v[130:131], s[8:9], v[52:53], v[126:127]
	v_add_f64 v[46:47], v[46:47], -v[68:69]
	v_add_f64 v[62:63], v[48:49], -v[40:41]
	;; [unrolled: 1-line block ×3, first 2 shown]
	v_fmac_f64_e32 v[126:127], s[12:13], v[52:53]
	v_fmac_f64_e32 v[130:131], s[0:1], v[46:47]
	v_add_f64 v[62:63], v[62:63], v[68:69]
	v_fmac_f64_e32 v[126:127], s[14:15], v[46:47]
	v_fmac_f64_e32 v[130:131], s[10:11], v[62:63]
	;; [unrolled: 1-line block ×3, first 2 shown]
	v_add_f64 v[62:63], v[48:49], v[56:57]
	v_add_f64 v[122:123], v[118:119], v[48:49]
	v_fmac_f64_e32 v[118:119], -0.5, v[62:63]
	v_add_f64 v[122:123], v[122:123], v[40:41]
	v_fma_f64 v[132:133], s[12:13], v[46:47], v[118:119]
	v_fmac_f64_e32 v[118:119], s[8:9], v[46:47]
	v_add_f64 v[46:47], v[42:43], v[66:67]
	v_add_f64 v[122:123], v[122:123], v[64:65]
	v_add_f64 v[40:41], v[40:41], -v[48:49]
	v_add_f64 v[48:49], v[64:65], -v[56:57]
	v_fma_f64 v[62:63], -0.5, v[46:47], v[154:155]
	v_add_f64 v[46:47], v[44:45], -v[70:71]
	v_add_f64 v[122:123], v[122:123], v[56:57]
	v_fmac_f64_e32 v[132:133], s[0:1], v[52:53]
	v_add_f64 v[40:41], v[40:41], v[48:49]
	v_fmac_f64_e32 v[118:119], s[14:15], v[52:53]
	v_fma_f64 v[64:65], s[12:13], v[46:47], v[62:63]
	v_add_f64 v[48:49], v[54:55], -v[60:61]
	v_add_f64 v[52:53], v[50:51], -v[42:43]
	;; [unrolled: 1-line block ×3, first 2 shown]
	v_fmac_f64_e32 v[62:63], s[8:9], v[46:47]
	v_fmac_f64_e32 v[64:65], s[14:15], v[48:49]
	v_add_f64 v[52:53], v[52:53], v[56:57]
	v_fmac_f64_e32 v[62:63], s[0:1], v[48:49]
	v_fmac_f64_e32 v[64:65], s[10:11], v[52:53]
	v_fmac_f64_e32 v[62:63], s[10:11], v[52:53]
	v_add_f64 v[52:53], v[50:51], v[58:59]
	v_fmac_f64_e32 v[132:133], s[10:11], v[40:41]
	v_fmac_f64_e32 v[118:119], s[10:11], v[40:41]
	v_add_f64 v[40:41], v[154:155], v[50:51]
	v_fmac_f64_e32 v[154:155], -0.5, v[52:53]
	v_fma_f64 v[68:69], s[8:9], v[48:49], v[154:155]
	v_fmac_f64_e32 v[154:155], s[12:13], v[48:49]
	v_fmac_f64_e32 v[68:69], s[14:15], v[46:47]
	;; [unrolled: 1-line block ×3, first 2 shown]
	v_add_f64 v[46:47], v[120:121], v[44:45]
	v_add_f64 v[46:47], v[46:47], v[54:55]
	v_add_f64 v[46:47], v[46:47], v[60:61]
	v_add_f64 v[52:53], v[42:43], -v[50:51]
	v_add_f64 v[56:57], v[66:67], -v[58:59]
	v_add_f64 v[134:135], v[46:47], v[70:71]
	v_add_f64 v[46:47], v[54:55], v[60:61]
	;; [unrolled: 1-line block ×3, first 2 shown]
	v_fma_f64 v[136:137], -0.5, v[46:47], v[120:121]
	v_add_f64 v[46:47], v[50:51], -v[58:59]
	v_add_f64 v[40:41], v[40:41], v[42:43]
	v_fmac_f64_e32 v[68:69], s[10:11], v[52:53]
	v_fmac_f64_e32 v[154:155], s[10:11], v[52:53]
	v_fma_f64 v[50:51], s[8:9], v[46:47], v[136:137]
	v_add_f64 v[42:43], v[42:43], -v[66:67]
	v_add_f64 v[48:49], v[44:45], -v[54:55]
	;; [unrolled: 1-line block ×3, first 2 shown]
	v_fmac_f64_e32 v[136:137], s[12:13], v[46:47]
	v_fmac_f64_e32 v[50:51], s[0:1], v[42:43]
	v_add_f64 v[48:49], v[48:49], v[52:53]
	v_fmac_f64_e32 v[136:137], s[14:15], v[42:43]
	v_fmac_f64_e32 v[50:51], s[10:11], v[48:49]
	;; [unrolled: 1-line block ×3, first 2 shown]
	v_add_f64 v[48:49], v[44:45], v[70:71]
	v_add_f64 v[40:41], v[40:41], v[66:67]
	v_fmac_f64_e32 v[120:121], -0.5, v[48:49]
	v_add_f64 v[40:41], v[40:41], v[58:59]
	v_fma_f64 v[58:59], s[12:13], v[42:43], v[120:121]
	v_add_f64 v[44:45], v[54:55], -v[44:45]
	v_add_f64 v[48:49], v[60:61], -v[70:71]
	v_fmac_f64_e32 v[120:121], s[8:9], v[42:43]
	v_fmac_f64_e32 v[58:59], s[0:1], v[46:47]
	v_add_f64 v[44:45], v[44:45], v[48:49]
	v_fmac_f64_e32 v[120:121], s[14:15], v[46:47]
	v_fmac_f64_e32 v[58:59], s[10:11], v[44:45]
	v_fmac_f64_e32 v[120:121], s[10:11], v[44:45]
	v_mul_f64 v[42:43], v[50:51], s[14:15]
	v_mul_f64 v[66:67], v[58:59], s[12:13]
	;; [unrolled: 1-line block ×8, first 2 shown]
	v_fmac_f64_e32 v[42:43], s[16:17], v[64:65]
	v_fmac_f64_e32 v[66:67], s[10:11], v[68:69]
	;; [unrolled: 1-line block ×8, first 2 shown]
	v_add_f64 v[44:45], v[72:73], v[40:41]
	v_add_f64 v[48:49], v[124:125], v[42:43]
	;; [unrolled: 1-line block ×10, first 2 shown]
	v_add_f64 v[64:65], v[72:73], -v[40:41]
	v_add_f64 v[68:69], v[124:125], -v[42:43]
	;; [unrolled: 1-line block ×10, first 2 shown]
	s_waitcnt lgkmcnt(0)
	; wave barrier
	ds_write_b128 v162, v[44:47]
	ds_write_b128 v162, v[48:51] offset:160
	ds_write_b128 v162, v[52:55] offset:320
	;; [unrolled: 1-line block ×9, first 2 shown]
	s_waitcnt lgkmcnt(0)
	; wave barrier
	s_waitcnt lgkmcnt(0)
	ds_read_b128 v[52:55], v159
	ds_read_b128 v[48:51], v159 offset:480
	ds_read_b128 v[68:71], v159 offset:3200
	;; [unrolled: 1-line block ×8, first 2 shown]
	v_add_u32_e32 v120, 0x3c0, v159
	s_and_saveexec_b64 s[0:1], vcc
	s_cbranch_execz .LBB0_7
; %bb.6:
	ds_read_b128 v[40:43], v159 offset:1440
	ds_read_b128 v[108:111], v159 offset:3040
	;; [unrolled: 1-line block ×3, first 2 shown]
.LBB0_7:
	s_or_b64 exec, exec, s[0:1]
	s_waitcnt lgkmcnt(4)
	v_mul_f64 v[122:123], v[90:91], v[118:119]
	v_mul_f64 v[90:91], v[90:91], v[116:117]
	v_fmac_f64_e32 v[122:123], v[88:89], v[116:117]
	v_fma_f64 v[88:89], v[88:89], v[118:119], -v[90:91]
	v_mul_f64 v[90:91], v[86:87], v[70:71]
	v_fmac_f64_e32 v[90:91], v[84:85], v[68:69]
	v_mul_f64 v[68:69], v[86:87], v[68:69]
	v_fma_f64 v[68:69], v[84:85], v[70:71], -v[68:69]
	s_waitcnt lgkmcnt(2)
	v_mul_f64 v[70:71], v[98:99], v[74:75]
	v_fmac_f64_e32 v[70:71], v[96:97], v[72:73]
	v_mul_f64 v[72:73], v[98:99], v[72:73]
	v_fma_f64 v[72:73], v[96:97], v[74:75], -v[72:73]
	v_mul_f64 v[74:75], v[94:95], v[66:67]
	v_fmac_f64_e32 v[74:75], v[92:93], v[64:65]
	v_mul_f64 v[64:65], v[94:95], v[64:65]
	s_waitcnt lgkmcnt(0)
	v_mul_f64 v[94:95], v[102:103], v[58:59]
	v_mul_f64 v[86:87], v[106:107], v[62:63]
	v_fmac_f64_e32 v[94:95], v[100:101], v[56:57]
	v_mul_f64 v[56:57], v[102:103], v[56:57]
	v_fmac_f64_e32 v[86:87], v[104:105], v[60:61]
	v_mul_f64 v[60:61], v[106:107], v[60:61]
	v_fma_f64 v[96:97], v[100:101], v[58:59], -v[56:57]
	v_add_f64 v[58:59], v[122:123], v[90:91]
	s_mov_b32 s0, 0xe8584caa
	v_fma_f64 v[84:85], v[92:93], v[66:67], -v[64:65]
	v_fma_f64 v[92:93], v[104:105], v[62:63], -v[60:61]
	v_add_f64 v[56:57], v[52:53], v[122:123]
	v_fmac_f64_e32 v[52:53], -0.5, v[58:59]
	v_add_f64 v[58:59], v[88:89], -v[68:69]
	s_mov_b32 s1, 0xbfebb67a
	s_mov_b32 s9, 0x3febb67a
	;; [unrolled: 1-line block ×3, first 2 shown]
	v_add_f64 v[62:63], v[88:89], v[68:69]
	v_fma_f64 v[60:61], s[0:1], v[58:59], v[52:53]
	v_fmac_f64_e32 v[52:53], s[8:9], v[58:59]
	v_add_f64 v[58:59], v[54:55], v[88:89]
	v_fmac_f64_e32 v[54:55], -0.5, v[62:63]
	v_add_f64 v[64:65], v[122:123], -v[90:91]
	v_add_f64 v[66:67], v[70:71], v[74:75]
	v_fma_f64 v[62:63], s[8:9], v[64:65], v[54:55]
	v_fmac_f64_e32 v[54:55], s[0:1], v[64:65]
	v_add_f64 v[64:65], v[48:49], v[70:71]
	v_fmac_f64_e32 v[48:49], -0.5, v[66:67]
	v_add_f64 v[66:67], v[72:73], -v[84:85]
	v_add_f64 v[58:59], v[58:59], v[68:69]
	v_fma_f64 v[68:69], s[0:1], v[66:67], v[48:49]
	v_fmac_f64_e32 v[48:49], s[8:9], v[66:67]
	v_add_f64 v[66:67], v[50:51], v[72:73]
	v_add_f64 v[72:73], v[72:73], v[84:85]
	;; [unrolled: 1-line block ×3, first 2 shown]
	v_fmac_f64_e32 v[50:51], -0.5, v[72:73]
	v_add_f64 v[72:73], v[70:71], -v[74:75]
	v_add_f64 v[74:75], v[86:87], v[94:95]
	v_fma_f64 v[70:71], s[8:9], v[72:73], v[50:51]
	v_fmac_f64_e32 v[50:51], s[0:1], v[72:73]
	v_add_f64 v[72:73], v[44:45], v[86:87]
	v_fmac_f64_e32 v[44:45], -0.5, v[74:75]
	v_add_f64 v[74:75], v[92:93], -v[96:97]
	v_add_f64 v[88:89], v[92:93], v[96:97]
	v_add_f64 v[56:57], v[56:57], v[90:91]
	;; [unrolled: 1-line block ×3, first 2 shown]
	v_fma_f64 v[84:85], s[0:1], v[74:75], v[44:45]
	v_fmac_f64_e32 v[44:45], s[8:9], v[74:75]
	v_add_f64 v[74:75], v[46:47], v[92:93]
	v_fmac_f64_e32 v[46:47], -0.5, v[88:89]
	v_add_f64 v[88:89], v[86:87], -v[94:95]
	v_add_f64 v[72:73], v[72:73], v[94:95]
	v_add_f64 v[74:75], v[74:75], v[96:97]
	v_fma_f64 v[86:87], s[8:9], v[88:89], v[46:47]
	v_fmac_f64_e32 v[46:47], s[0:1], v[88:89]
	ds_write_b128 v159, v[56:59]
	ds_write_b128 v140, v[60:63] offset:1600
	ds_write_b128 v140, v[52:55] offset:3200
	;; [unrolled: 1-line block ×8, first 2 shown]
	s_and_saveexec_b64 s[10:11], vcc
	s_cbranch_execz .LBB0_9
; %bb.8:
	v_mul_f64 v[44:45], v[82:83], v[108:109]
	v_fma_f64 v[46:47], v[80:81], v[110:111], -v[44:45]
	v_mul_f64 v[44:45], v[78:79], v[112:113]
	v_fma_f64 v[50:51], v[76:77], v[114:115], -v[44:45]
	v_mul_f64 v[54:55], v[82:83], v[110:111]
	v_mul_f64 v[56:57], v[78:79], v[114:115]
	v_add_f64 v[44:45], v[46:47], v[50:51]
	v_fmac_f64_e32 v[54:55], v[80:81], v[108:109]
	v_fmac_f64_e32 v[56:57], v[76:77], v[112:113]
	v_fma_f64 v[44:45], -0.5, v[44:45], v[42:43]
	v_add_f64 v[52:53], v[54:55], -v[56:57]
	v_add_f64 v[42:43], v[42:43], v[46:47]
	v_fma_f64 v[48:49], s[0:1], v[52:53], v[44:45]
	v_fmac_f64_e32 v[44:45], s[8:9], v[52:53]
	v_add_f64 v[52:53], v[42:43], v[50:51]
	v_add_f64 v[42:43], v[54:55], v[56:57]
	v_fma_f64 v[42:43], -0.5, v[42:43], v[40:41]
	v_add_f64 v[50:51], v[46:47], -v[50:51]
	v_add_f64 v[40:41], v[40:41], v[54:55]
	v_fma_f64 v[46:47], s[8:9], v[50:51], v[42:43]
	v_fmac_f64_e32 v[42:43], s[0:1], v[50:51]
	v_add_f64 v[50:51], v[40:41], v[56:57]
	ds_write_b128 v159, v[50:53] offset:1440
	ds_write_b128 v140, v[42:45] offset:3040
	;; [unrolled: 1-line block ×3, first 2 shown]
.LBB0_9:
	s_or_b64 exec, exec, s[10:11]
	s_waitcnt lgkmcnt(0)
	; wave barrier
	s_waitcnt lgkmcnt(0)
	ds_read_b128 v[40:43], v159
	v_mad_u64_u32 v[54:55], s[0:1], s6, v158, 0
	v_mov_b32_e32 v44, v55
	v_mad_u64_u32 v[44:45], s[0:1], s7, v158, v[44:45]
	v_mov_b32_e32 v55, v44
	ds_read_b128 v[44:47], v159 offset:480
	s_waitcnt lgkmcnt(1)
	v_mul_f64 v[48:49], v[6:7], v[42:43]
	s_mov_b32 s0, 0xb4e81b4f
	v_mul_f64 v[6:7], v[6:7], v[40:41]
	v_fmac_f64_e32 v[48:49], v[4:5], v[40:41]
	s_mov_b32 s1, 0x3f6b4e81
	v_fma_f64 v[4:5], v[4:5], v[42:43], -v[6:7]
	v_mov_b32_e32 v52, s2
	v_mov_b32_e32 v53, s3
	v_mul_f64 v[50:51], v[4:5], s[0:1]
	v_mad_u64_u32 v[4:5], s[2:3], s4, v156, 0
	v_mov_b32_e32 v6, v5
	v_mad_u64_u32 v[6:7], s[2:3], s5, v156, v[6:7]
	v_mov_b32_e32 v5, v6
	v_lshl_add_u64 v[6:7], v[54:55], 4, v[52:53]
	v_lshl_add_u64 v[40:41], v[4:5], 4, v[6:7]
	s_waitcnt lgkmcnt(0)
	v_mul_f64 v[4:5], v[2:3], v[46:47]
	v_mul_f64 v[2:3], v[2:3], v[44:45]
	v_fmac_f64_e32 v[4:5], v[0:1], v[44:45]
	v_fma_f64 v[0:1], v[0:1], v[46:47], -v[2:3]
	v_mov_b32_e32 v46, 0x1e0
	v_mul_f64 v[6:7], v[0:1], s[0:1]
	v_mad_u64_u32 v[44:45], s[2:3], s4, v46, v[40:41]
	ds_read_b128 v[0:3], v159 offset:960
	s_mul_i32 s2, s5, 0x1e0
	v_mul_f64 v[48:49], v[48:49], s[0:1]
	v_mul_f64 v[4:5], v[4:5], s[0:1]
	v_add_u32_e32 v45, s2, v45
	global_store_dwordx4 v[40:41], v[48:51], off
	global_store_dwordx4 v[44:45], v[4:7], off
	ds_read_b128 v[4:7], v159 offset:1440
	s_waitcnt lgkmcnt(1)
	v_mul_f64 v[40:41], v[14:15], v[2:3]
	v_fmac_f64_e32 v[40:41], v[12:13], v[0:1]
	v_mul_f64 v[0:1], v[14:15], v[0:1]
	v_fma_f64 v[0:1], v[12:13], v[2:3], -v[0:1]
	v_mul_f64 v[42:43], v[0:1], s[0:1]
	v_mad_u64_u32 v[12:13], s[6:7], s4, v46, v[44:45]
	s_waitcnt lgkmcnt(0)
	v_mul_f64 v[0:1], v[10:11], v[6:7]
	v_mul_f64 v[2:3], v[10:11], v[4:5]
	;; [unrolled: 1-line block ×3, first 2 shown]
	v_add_u32_e32 v13, s2, v13
	v_fmac_f64_e32 v[0:1], v[8:9], v[4:5]
	v_fma_f64 v[2:3], v[8:9], v[6:7], -v[2:3]
	ds_read_b128 v[4:7], v159 offset:1920
	global_store_dwordx4 v[12:13], v[40:43], off
	v_mad_u64_u32 v[12:13], s[6:7], s4, v46, v[12:13]
	v_mul_f64 v[0:1], v[0:1], s[0:1]
	v_mul_f64 v[2:3], v[2:3], s[0:1]
	v_add_u32_e32 v13, s2, v13
	global_store_dwordx4 v[12:13], v[0:3], off
	ds_read_b128 v[0:3], v159 offset:2400
	s_waitcnt lgkmcnt(1)
	v_mul_f64 v[8:9], v[30:31], v[6:7]
	v_fmac_f64_e32 v[8:9], v[28:29], v[4:5]
	v_mul_f64 v[4:5], v[30:31], v[4:5]
	v_fma_f64 v[4:5], v[28:29], v[6:7], -v[4:5]
	v_mul_f64 v[10:11], v[4:5], s[0:1]
	s_waitcnt lgkmcnt(0)
	v_mul_f64 v[4:5], v[18:19], v[2:3]
	v_fmac_f64_e32 v[4:5], v[16:17], v[0:1]
	v_mul_f64 v[0:1], v[18:19], v[0:1]
	v_mad_u64_u32 v[12:13], s[6:7], s4, v46, v[12:13]
	v_fma_f64 v[0:1], v[16:17], v[2:3], -v[0:1]
	v_mul_f64 v[8:9], v[8:9], s[0:1]
	v_add_u32_e32 v13, s2, v13
	v_mul_f64 v[6:7], v[0:1], s[0:1]
	ds_read_b128 v[0:3], v159 offset:2880
	global_store_dwordx4 v[12:13], v[8:11], off
	v_mad_u64_u32 v[12:13], s[6:7], s4, v46, v[12:13]
	v_mul_f64 v[4:5], v[4:5], s[0:1]
	v_add_u32_e32 v13, s2, v13
	global_store_dwordx4 v[12:13], v[4:7], off
	ds_read_b128 v[4:7], v159 offset:3360
	s_waitcnt lgkmcnt(1)
	v_mul_f64 v[8:9], v[38:39], v[2:3]
	v_fmac_f64_e32 v[8:9], v[36:37], v[0:1]
	v_mul_f64 v[0:1], v[38:39], v[0:1]
	v_fma_f64 v[0:1], v[36:37], v[2:3], -v[0:1]
	v_mul_f64 v[10:11], v[0:1], s[0:1]
	v_mad_u64_u32 v[12:13], s[6:7], s4, v46, v[12:13]
	s_waitcnt lgkmcnt(0)
	v_mul_f64 v[0:1], v[26:27], v[6:7]
	v_mul_f64 v[2:3], v[26:27], v[4:5]
	;; [unrolled: 1-line block ×3, first 2 shown]
	v_add_u32_e32 v13, s2, v13
	v_fmac_f64_e32 v[0:1], v[24:25], v[4:5]
	v_fma_f64 v[2:3], v[24:25], v[6:7], -v[2:3]
	ds_read_b128 v[4:7], v159 offset:3840
	global_store_dwordx4 v[12:13], v[8:11], off
	v_mad_u64_u32 v[12:13], s[6:7], s4, v46, v[12:13]
	v_mul_f64 v[0:1], v[0:1], s[0:1]
	v_mul_f64 v[2:3], v[2:3], s[0:1]
	v_add_u32_e32 v13, s2, v13
	global_store_dwordx4 v[12:13], v[0:3], off
	ds_read_b128 v[0:3], v159 offset:4320
	s_waitcnt lgkmcnt(1)
	v_mul_f64 v[8:9], v[22:23], v[6:7]
	v_fmac_f64_e32 v[8:9], v[20:21], v[4:5]
	v_mul_f64 v[4:5], v[22:23], v[4:5]
	v_fma_f64 v[4:5], v[20:21], v[6:7], -v[4:5]
	v_mul_f64 v[10:11], v[4:5], s[0:1]
	s_waitcnt lgkmcnt(0)
	v_mul_f64 v[4:5], v[34:35], v[2:3]
	v_mad_u64_u32 v[12:13], s[6:7], s4, v46, v[12:13]
	v_fmac_f64_e32 v[4:5], v[32:33], v[0:1]
	v_mul_f64 v[0:1], v[34:35], v[0:1]
	v_add_u32_e32 v13, s2, v13
	v_fma_f64 v[0:1], v[32:33], v[2:3], -v[0:1]
	v_mul_f64 v[8:9], v[8:9], s[0:1]
	v_mul_f64 v[4:5], v[4:5], s[0:1]
	;; [unrolled: 1-line block ×3, first 2 shown]
	v_mad_u64_u32 v[0:1], s[0:1], s4, v46, v[12:13]
	v_add_u32_e32 v1, s2, v1
	global_store_dwordx4 v[12:13], v[8:11], off
	global_store_dwordx4 v[0:1], v[4:7], off
.LBB0_10:
	s_endpgm
	.section	.rodata,"a",@progbits
	.p2align	6, 0x0
	.amdhsa_kernel bluestein_single_back_len300_dim1_dp_op_CI_CI
		.amdhsa_group_segment_fixed_size 9600
		.amdhsa_private_segment_fixed_size 0
		.amdhsa_kernarg_size 104
		.amdhsa_user_sgpr_count 2
		.amdhsa_user_sgpr_dispatch_ptr 0
		.amdhsa_user_sgpr_queue_ptr 0
		.amdhsa_user_sgpr_kernarg_segment_ptr 1
		.amdhsa_user_sgpr_dispatch_id 0
		.amdhsa_user_sgpr_kernarg_preload_length 0
		.amdhsa_user_sgpr_kernarg_preload_offset 0
		.amdhsa_user_sgpr_private_segment_size 0
		.amdhsa_uses_dynamic_stack 0
		.amdhsa_enable_private_segment 0
		.amdhsa_system_sgpr_workgroup_id_x 1
		.amdhsa_system_sgpr_workgroup_id_y 0
		.amdhsa_system_sgpr_workgroup_id_z 0
		.amdhsa_system_sgpr_workgroup_info 0
		.amdhsa_system_vgpr_workitem_id 0
		.amdhsa_next_free_vgpr 234
		.amdhsa_next_free_sgpr 24
		.amdhsa_accum_offset 236
		.amdhsa_reserve_vcc 1
		.amdhsa_float_round_mode_32 0
		.amdhsa_float_round_mode_16_64 0
		.amdhsa_float_denorm_mode_32 3
		.amdhsa_float_denorm_mode_16_64 3
		.amdhsa_dx10_clamp 1
		.amdhsa_ieee_mode 1
		.amdhsa_fp16_overflow 0
		.amdhsa_tg_split 0
		.amdhsa_exception_fp_ieee_invalid_op 0
		.amdhsa_exception_fp_denorm_src 0
		.amdhsa_exception_fp_ieee_div_zero 0
		.amdhsa_exception_fp_ieee_overflow 0
		.amdhsa_exception_fp_ieee_underflow 0
		.amdhsa_exception_fp_ieee_inexact 0
		.amdhsa_exception_int_div_zero 0
	.end_amdhsa_kernel
	.text
.Lfunc_end0:
	.size	bluestein_single_back_len300_dim1_dp_op_CI_CI, .Lfunc_end0-bluestein_single_back_len300_dim1_dp_op_CI_CI
                                        ; -- End function
	.section	.AMDGPU.csdata,"",@progbits
; Kernel info:
; codeLenInByte = 9960
; NumSgprs: 30
; NumVgprs: 234
; NumAgprs: 0
; TotalNumVgprs: 234
; ScratchSize: 0
; MemoryBound: 0
; FloatMode: 240
; IeeeMode: 1
; LDSByteSize: 9600 bytes/workgroup (compile time only)
; SGPRBlocks: 3
; VGPRBlocks: 29
; NumSGPRsForWavesPerEU: 30
; NumVGPRsForWavesPerEU: 234
; AccumOffset: 236
; Occupancy: 2
; WaveLimiterHint : 1
; COMPUTE_PGM_RSRC2:SCRATCH_EN: 0
; COMPUTE_PGM_RSRC2:USER_SGPR: 2
; COMPUTE_PGM_RSRC2:TRAP_HANDLER: 0
; COMPUTE_PGM_RSRC2:TGID_X_EN: 1
; COMPUTE_PGM_RSRC2:TGID_Y_EN: 0
; COMPUTE_PGM_RSRC2:TGID_Z_EN: 0
; COMPUTE_PGM_RSRC2:TIDIG_COMP_CNT: 0
; COMPUTE_PGM_RSRC3_GFX90A:ACCUM_OFFSET: 58
; COMPUTE_PGM_RSRC3_GFX90A:TG_SPLIT: 0
	.text
	.p2alignl 6, 3212836864
	.fill 256, 4, 3212836864
	.type	__hip_cuid_eeecda86605928ce,@object ; @__hip_cuid_eeecda86605928ce
	.section	.bss,"aw",@nobits
	.globl	__hip_cuid_eeecda86605928ce
__hip_cuid_eeecda86605928ce:
	.byte	0                               ; 0x0
	.size	__hip_cuid_eeecda86605928ce, 1

	.ident	"AMD clang version 19.0.0git (https://github.com/RadeonOpenCompute/llvm-project roc-6.4.0 25133 c7fe45cf4b819c5991fe208aaa96edf142730f1d)"
	.section	".note.GNU-stack","",@progbits
	.addrsig
	.addrsig_sym __hip_cuid_eeecda86605928ce
	.amdgpu_metadata
---
amdhsa.kernels:
  - .agpr_count:     0
    .args:
      - .actual_access:  read_only
        .address_space:  global
        .offset:         0
        .size:           8
        .value_kind:     global_buffer
      - .actual_access:  read_only
        .address_space:  global
        .offset:         8
        .size:           8
        .value_kind:     global_buffer
      - .actual_access:  read_only
        .address_space:  global
        .offset:         16
        .size:           8
        .value_kind:     global_buffer
      - .actual_access:  read_only
        .address_space:  global
        .offset:         24
        .size:           8
        .value_kind:     global_buffer
      - .actual_access:  read_only
        .address_space:  global
        .offset:         32
        .size:           8
        .value_kind:     global_buffer
      - .offset:         40
        .size:           8
        .value_kind:     by_value
      - .address_space:  global
        .offset:         48
        .size:           8
        .value_kind:     global_buffer
      - .address_space:  global
        .offset:         56
        .size:           8
        .value_kind:     global_buffer
      - .address_space:  global
        .offset:         64
        .size:           8
        .value_kind:     global_buffer
      - .address_space:  global
        .offset:         72
        .size:           8
        .value_kind:     global_buffer
      - .offset:         80
        .size:           4
        .value_kind:     by_value
      - .address_space:  global
        .offset:         88
        .size:           8
        .value_kind:     global_buffer
      - .address_space:  global
        .offset:         96
        .size:           8
        .value_kind:     global_buffer
    .group_segment_fixed_size: 9600
    .kernarg_segment_align: 8
    .kernarg_segment_size: 104
    .language:       OpenCL C
    .language_version:
      - 2
      - 0
    .max_flat_workgroup_size: 60
    .name:           bluestein_single_back_len300_dim1_dp_op_CI_CI
    .private_segment_fixed_size: 0
    .sgpr_count:     30
    .sgpr_spill_count: 0
    .symbol:         bluestein_single_back_len300_dim1_dp_op_CI_CI.kd
    .uniform_work_group_size: 1
    .uses_dynamic_stack: false
    .vgpr_count:     234
    .vgpr_spill_count: 0
    .wavefront_size: 64
amdhsa.target:   amdgcn-amd-amdhsa--gfx950
amdhsa.version:
  - 1
  - 2
...

	.end_amdgpu_metadata
